;; amdgpu-corpus repo=triton-lang/triton kind=triton arch=gfx950 opt=O3 lang=triton
	.amdgcn_target "amdgcn-amd-amdhsa--gfx950"
	.amdhsa_code_object_version 5
	.text
	.globl	vecadd_kernel                   ; -- Begin function vecadd_kernel
	.p2align	8
	.type	vecadd_kernel,@function
vecadd_kernel:                          ; @vecadd_kernel
.Lfunc_begin0:
	.cfi_sections .debug_frame
	.cfi_startproc
; %bb.53:
	.file	1 "/root/src/amdgpu-assembly/repos/triton-lang__triton-aot" "vecadd_pipelined.py"
	.loc	1 8 0 prologue_end              ; vecadd_pipelined.py:8:0
	s_load_dwordx2 s[2:3], s[0:1], 0x0
	s_load_dwordx8 s[4:11], s[0:1], 0x8
	s_load_dwordx2 s[12:13], s[0:1], 0x28
	s_waitcnt lgkmcnt(0)
	s_branch .LBB0_0
	.loc	1 0 0 is_stmt 0                 ; :0:0
.Ltmp0:
	.p2align	8
; %bb.54:
.LBB0_0:
.Ltmp1:
	.loc	1 11 41 is_stmt 1               ; vecadd_pipelined.py:11:41
	v_readfirstlane_b32 s0, v0
	.loc	1 17 39                         ; vecadd_pipelined.py:17:39
	s_and_b32 s28, s0, 0xc0
	.loc	1 10 37                         ; vecadd_pipelined.py:10:37
	s_mul_i32 s14, s14, s9
	.loc	1 11 41                         ; vecadd_pipelined.py:11:41
	v_and_b32_e32 v18, 63, v0
	.loc	1 10 37                         ; vecadd_pipelined.py:10:37
	s_lshl_b32 s29, s14, 10
	.loc	1 11 41                         ; vecadd_pipelined.py:11:41
	v_or_b32_e32 v0, s28, v18
	.loc	1 11 28 is_stmt 0               ; vecadd_pipelined.py:11:28
	v_or_b32_e32 v6, s29, v0
	.loc	1 12 37 is_stmt 1               ; vecadd_pipelined.py:12:37
	s_cmp_gt_i32 s9, 0
	s_cselect_b64 s[0:1], -1, 0
	.loc	1 13 25                         ; vecadd_pipelined.py:13:25
	v_cmp_gt_i32_e64 s[16:17], s8, v6
	.loc	1 14 28                         ; vecadd_pipelined.py:14:28
	v_ashrrev_i32_e32 v7, 31, v6
	v_lshl_add_u64 v[8:9], v[6:7], 2, s[2:3]
	.loc	1 12 37                         ; vecadd_pipelined.py:12:37
	s_and_b64 s[18:19], s[0:1], s[16:17]
	v_mov_b32_e32 v11, 0
	v_mov_b32_e32 v14, 0
	.loc	1 14 20                         ; vecadd_pipelined.py:14:20
	s_and_saveexec_b64 s[10:11], s[18:19]
	s_cbranch_execz .LBB0_2
; %bb.1:
	global_load_dword v14, v[8:9], off
.LBB0_2:
	.loc	1 0 20 is_stmt 0                ; vecadd_pipelined.py:0:20
	s_or_b64 exec, exec, s[10:11]
	.loc	1 11 28 is_stmt 1               ; vecadd_pipelined.py:11:28
	v_or_b32_e32 v0, 0x100, v6
	.loc	1 13 25                         ; vecadd_pipelined.py:13:25
	v_cmp_gt_i32_e64 s[14:15], s8, v0
	.loc	1 12 37                         ; vecadd_pipelined.py:12:37
	s_and_b64 s[20:21], s[0:1], s[14:15]
	.loc	1 14 20                         ; vecadd_pipelined.py:14:20
	s_and_saveexec_b64 s[10:11], s[20:21]
	s_cbranch_execz .LBB0_4
; %bb.3:
	global_load_dword v11, v[8:9], off offset:1024
.LBB0_4:
	.loc	1 0 20 is_stmt 0                ; vecadd_pipelined.py:0:20
	s_or_b64 exec, exec, s[10:11]
	.loc	1 11 28 is_stmt 1               ; vecadd_pipelined.py:11:28
	v_or_b32_e32 v2, 0x200, v6
	.loc	1 13 25                         ; vecadd_pipelined.py:13:25
	v_cmp_gt_i32_e64 s[12:13], s8, v2
	.loc	1 12 37                         ; vecadd_pipelined.py:12:37
	s_and_b64 s[22:23], s[0:1], s[12:13]
	v_mov_b32_e32 v10, 0
	v_mov_b32_e32 v12, 0
	.loc	1 14 20                         ; vecadd_pipelined.py:14:20
	s_and_saveexec_b64 s[10:11], s[22:23]
	s_cbranch_execz .LBB0_6
; %bb.5:
	global_load_dword v12, v[8:9], off offset:2048
.LBB0_6:
	.loc	1 0 20 is_stmt 0                ; vecadd_pipelined.py:0:20
	s_or_b64 exec, exec, s[10:11]
	.loc	1 11 28 is_stmt 1               ; vecadd_pipelined.py:11:28
	v_or_b32_e32 v4, 0x300, v6
	.loc	1 13 25                         ; vecadd_pipelined.py:13:25
	v_cmp_gt_i32_e64 s[10:11], s8, v4
	.loc	1 12 37                         ; vecadd_pipelined.py:12:37
	s_and_b64 s[24:25], s[0:1], s[10:11]
	.loc	1 14 20                         ; vecadd_pipelined.py:14:20
	s_and_saveexec_b64 s[26:27], s[24:25]
	s_cbranch_execz .LBB0_8
; %bb.7:
	global_load_dword v10, v[8:9], off offset:3072
.LBB0_8:
	.loc	1 0 20 is_stmt 0                ; vecadd_pipelined.py:0:20
	s_or_b64 exec, exec, s[26:27]
	.loc	1 15 28 is_stmt 1               ; vecadd_pipelined.py:15:28
	v_lshl_add_u64 v[8:9], v[6:7], 2, s[4:5]
	v_mov_b32_e32 v16, 0
	v_mov_b32_e32 v17, 0
	.loc	1 15 20 is_stmt 0               ; vecadd_pipelined.py:15:20
	s_and_saveexec_b64 s[26:27], s[18:19]
	s_cbranch_execz .LBB0_10
; %bb.9:
	global_load_dword v17, v[8:9], off
.LBB0_10:
	.loc	1 0 20                          ; vecadd_pipelined.py:0:20
	s_or_b64 exec, exec, s[26:27]
	.loc	1 15 20                         ; vecadd_pipelined.py:15:20
	s_and_saveexec_b64 s[18:19], s[20:21]
	s_cbranch_execz .LBB0_12
; %bb.11:
	global_load_dword v16, v[8:9], off offset:1024
.LBB0_12:
	.loc	1 0 20                          ; vecadd_pipelined.py:0:20
	s_or_b64 exec, exec, s[18:19]
	v_mov_b32_e32 v13, 0
	v_mov_b32_e32 v15, 0
	.loc	1 15 20                         ; vecadd_pipelined.py:15:20
	s_and_saveexec_b64 s[18:19], s[22:23]
	s_cbranch_execz .LBB0_14
; %bb.13:
	global_load_dword v15, v[8:9], off offset:2048
.LBB0_14:
	.loc	1 0 20                          ; vecadd_pipelined.py:0:20
	s_or_b64 exec, exec, s[18:19]
	.loc	1 15 20                         ; vecadd_pipelined.py:15:20
	s_and_saveexec_b64 s[18:19], s[24:25]
	s_cbranch_execz .LBB0_16
; %bb.15:
	global_load_dword v13, v[8:9], off offset:3072
.LBB0_16:
	.loc	1 0 20                          ; vecadd_pipelined.py:0:20
	s_or_b64 exec, exec, s[18:19]
	.loc	1 12 37 is_stmt 1               ; vecadd_pipelined.py:12:37
	s_add_i32 s9, s9, -1
	.loc	1 14 28                         ; vecadd_pipelined.py:14:28
	v_ashrrev_i32_e32 v1, 31, v0
	v_ashrrev_i32_e32 v3, 31, v2
	.loc	1 12 37                         ; vecadd_pipelined.py:12:37
	s_cmp_lt_i32 s9, 1
	.loc	1 14 28                         ; vecadd_pipelined.py:14:28
	v_ashrrev_i32_e32 v5, 31, v4
	.loc	1 12 37                         ; vecadd_pipelined.py:12:37
	s_cbranch_scc1 .LBB0_44
; %bb.17:                               ; %.lr.ph.preheader
	.loc	1 14 20                         ; vecadd_pipelined.py:14:20
	s_add_i32 s29, s29, s28
	v_add_u32_e32 v0, s29, v18
	v_add_u32_e32 v8, 0x700, v0
	s_branch .LBB0_19
.LBB0_18:                               ;   in Loop: Header=BB0_19 Depth=1
	.loc	1 0 20 is_stmt 0                ; vecadd_pipelined.py:0:20
	s_or_b64 exec, exec, s[12:13]
	.loc	1 12 37 is_stmt 1               ; vecadd_pipelined.py:12:37
	s_add_i32 s9, s9, -1
	v_add_u32_e32 v8, 0x400, v4
	s_cmp_lg_u32 s9, 0
	s_mov_b64 s[16:17], s[18:19]
	s_mov_b64 s[14:15], s[20:21]
	;; [unrolled: 1-line block ×4, first 2 shown]
	s_waitcnt vmcnt(0)
	v_mov_b32_e32 v13, v23
	v_mov_b32_e32 v15, v7
	v_mov_b32_e32 v16, v21
	v_mov_b32_e32 v17, v22
	v_mov_b32_e32 v10, v20
	v_mov_b32_e32 v12, v19
	v_mov_b32_e32 v11, v9
	v_mov_b32_e32 v14, v18
	s_cbranch_scc0 .LBB0_43
.LBB0_19:                               ; %.lr.ph
                                        ; =>This Inner Loop Header: Depth=1
	.loc	1 18 19                         ; vecadd_pipelined.py:18:19
	v_add_u32_e32 v6, 0xfffffd00, v8
	.loc	1 13 25                         ; vecadd_pipelined.py:13:25
	v_cmp_gt_i32_e64 s[18:19], s8, v6
	v_mov_b32_e32 v9, 0
	v_ashrrev_i32_e32 v7, 31, v6
	v_mov_b32_e32 v18, 0
	.loc	1 14 20                         ; vecadd_pipelined.py:14:20
	s_and_saveexec_b64 s[20:21], s[18:19]
	s_cbranch_execz .LBB0_21
; %bb.20:                               ;   in Loop: Header=BB0_19 Depth=1
	.loc	1 0 20 is_stmt 0                ; vecadd_pipelined.py:0:20
	v_lshl_add_u64 v[0:1], v[6:7], 2, s[2:3]
	.loc	1 14 20                         ; vecadd_pipelined.py:14:20
	global_load_dword v18, v[0:1], off
.LBB0_21:                               ;   in Loop: Header=BB0_19 Depth=1
	.loc	1 0 20                          ; vecadd_pipelined.py:0:20
	s_or_b64 exec, exec, s[20:21]
	.loc	1 18 19 is_stmt 1               ; vecadd_pipelined.py:18:19
	v_add_u32_e32 v0, 0xfffffe00, v8
	.loc	1 13 25                         ; vecadd_pipelined.py:13:25
	v_cmp_gt_i32_e64 s[20:21], s8, v0
	.loc	1 14 28                         ; vecadd_pipelined.py:14:28
	v_ashrrev_i32_e32 v1, 31, v0
	.loc	1 14 20 is_stmt 0               ; vecadd_pipelined.py:14:20
	s_and_saveexec_b64 s[22:23], s[20:21]
	s_cbranch_execz .LBB0_23
; %bb.22:                               ;   in Loop: Header=BB0_19 Depth=1
	.loc	1 14 28                         ; vecadd_pipelined.py:14:28
	v_lshl_add_u64 v[2:3], v[0:1], 2, s[2:3]
	.loc	1 14 20                         ; vecadd_pipelined.py:14:20
	global_load_dword v9, v[2:3], off
.LBB0_23:                               ;   in Loop: Header=BB0_19 Depth=1
	.loc	1 0 20                          ; vecadd_pipelined.py:0:20
	s_or_b64 exec, exec, s[22:23]
	.loc	1 18 19 is_stmt 1               ; vecadd_pipelined.py:18:19
	v_add_u32_e32 v2, 0xffffff00, v8
	.loc	1 13 25                         ; vecadd_pipelined.py:13:25
	v_cmp_gt_i32_e64 s[22:23], s8, v2
	.loc	1 14 28                         ; vecadd_pipelined.py:14:28
	v_ashrrev_i32_e32 v3, 31, v2
	v_mov_b32_e32 v20, 0
	v_mov_b32_e32 v19, 0
	.loc	1 14 20 is_stmt 0               ; vecadd_pipelined.py:14:20
	s_and_saveexec_b64 s[24:25], s[22:23]
	s_cbranch_execz .LBB0_25
; %bb.24:                               ;   in Loop: Header=BB0_19 Depth=1
	.loc	1 14 28                         ; vecadd_pipelined.py:14:28
	v_lshl_add_u64 v[4:5], v[2:3], 2, s[2:3]
	.loc	1 14 20                         ; vecadd_pipelined.py:14:20
	global_load_dword v19, v[4:5], off
.LBB0_25:                               ;   in Loop: Header=BB0_19 Depth=1
	.loc	1 0 20                          ; vecadd_pipelined.py:0:20
	s_or_b64 exec, exec, s[24:25]
	.loc	1 13 25 is_stmt 1               ; vecadd_pipelined.py:13:25
	v_cmp_gt_i32_e64 s[24:25], s8, v8
	.loc	1 14 28                         ; vecadd_pipelined.py:14:28
	v_ashrrev_i32_e32 v5, 31, v8
	v_mov_b32_e32 v4, v8
	.loc	1 14 20 is_stmt 0               ; vecadd_pipelined.py:14:20
	s_and_saveexec_b64 s[26:27], s[24:25]
	s_cbranch_execz .LBB0_27
; %bb.26:                               ;   in Loop: Header=BB0_19 Depth=1
	.loc	1 14 28                         ; vecadd_pipelined.py:14:28
	v_lshl_add_u64 v[20:21], v[4:5], 2, s[2:3]
	.loc	1 14 20                         ; vecadd_pipelined.py:14:20
	global_load_dword v20, v[20:21], off
.LBB0_27:                               ;   in Loop: Header=BB0_19 Depth=1
	.loc	1 0 20                          ; vecadd_pipelined.py:0:20
	s_or_b64 exec, exec, s[26:27]
	v_mov_b32_e32 v21, 0
	v_mov_b32_e32 v22, 0
	.loc	1 15 20 is_stmt 1               ; vecadd_pipelined.py:15:20
	s_and_saveexec_b64 s[26:27], s[18:19]
	s_cbranch_execz .LBB0_29
; %bb.28:                               ;   in Loop: Header=BB0_19 Depth=1
	.loc	1 0 20 is_stmt 0                ; vecadd_pipelined.py:0:20
	v_lshl_add_u64 v[6:7], v[6:7], 2, s[4:5]
	.loc	1 15 20                         ; vecadd_pipelined.py:15:20
	global_load_dword v22, v[6:7], off
.LBB0_29:                               ;   in Loop: Header=BB0_19 Depth=1
	.loc	1 0 20                          ; vecadd_pipelined.py:0:20
	s_or_b64 exec, exec, s[26:27]
	.loc	1 15 20                         ; vecadd_pipelined.py:15:20
	s_and_saveexec_b64 s[26:27], s[20:21]
	s_cbranch_execz .LBB0_31
; %bb.30:                               ;   in Loop: Header=BB0_19 Depth=1
	.loc	1 15 28                         ; vecadd_pipelined.py:15:28
	v_lshl_add_u64 v[6:7], v[0:1], 2, s[4:5]
	.loc	1 15 20                         ; vecadd_pipelined.py:15:20
	global_load_dword v21, v[6:7], off
.LBB0_31:                               ;   in Loop: Header=BB0_19 Depth=1
	.loc	1 0 20                          ; vecadd_pipelined.py:0:20
	s_or_b64 exec, exec, s[26:27]
	v_mov_b32_e32 v23, 0
	v_mov_b32_e32 v7, 0
	.loc	1 15 20                         ; vecadd_pipelined.py:15:20
	s_and_saveexec_b64 s[26:27], s[22:23]
	s_cbranch_execnz .LBB0_37
; %bb.32:                               ;   in Loop: Header=BB0_19 Depth=1
	.loc	1 0 20                          ; vecadd_pipelined.py:0:20
	s_or_b64 exec, exec, s[26:27]
	.loc	1 15 20                         ; vecadd_pipelined.py:15:20
	s_and_saveexec_b64 s[26:27], s[24:25]
	s_cbranch_execnz .LBB0_38
.LBB0_33:                               ;   in Loop: Header=BB0_19 Depth=1
	.loc	1 0 20                          ; vecadd_pipelined.py:0:20
	s_or_b64 exec, exec, s[26:27]
	.loc	1 17 39 is_stmt 1               ; vecadd_pipelined.py:17:39
	s_and_saveexec_b64 s[26:27], s[16:17]
	s_cbranch_execnz .LBB0_39
.LBB0_34:                               ;   in Loop: Header=BB0_19 Depth=1
	.loc	1 0 39 is_stmt 0                ; vecadd_pipelined.py:0:39
	s_or_b64 exec, exec, s[26:27]
	.loc	1 17 39                         ; vecadd_pipelined.py:17:39
	s_and_saveexec_b64 s[16:17], s[14:15]
	s_cbranch_execnz .LBB0_40
.LBB0_35:                               ;   in Loop: Header=BB0_19 Depth=1
	.loc	1 0 39                          ; vecadd_pipelined.py:0:39
	s_or_b64 exec, exec, s[16:17]
	.loc	1 17 39                         ; vecadd_pipelined.py:17:39
	s_and_saveexec_b64 s[14:15], s[12:13]
	s_cbranch_execnz .LBB0_41
.LBB0_36:                               ;   in Loop: Header=BB0_19 Depth=1
	.loc	1 0 39                          ; vecadd_pipelined.py:0:39
	s_or_b64 exec, exec, s[14:15]
	.loc	1 17 39                         ; vecadd_pipelined.py:17:39
	s_and_saveexec_b64 s[12:13], s[10:11]
	s_cbranch_execz .LBB0_18
	s_branch .LBB0_42
.LBB0_37:                               ;   in Loop: Header=BB0_19 Depth=1
	.loc	1 15 28 is_stmt 1               ; vecadd_pipelined.py:15:28
	v_lshl_add_u64 v[6:7], v[2:3], 2, s[4:5]
	.loc	1 15 20 is_stmt 0               ; vecadd_pipelined.py:15:20
	global_load_dword v7, v[6:7], off
	s_or_b64 exec, exec, s[26:27]
	s_and_saveexec_b64 s[26:27], s[24:25]
	s_cbranch_execz .LBB0_33
.LBB0_38:                               ;   in Loop: Header=BB0_19 Depth=1
	.loc	1 15 28                         ; vecadd_pipelined.py:15:28
	v_lshl_add_u64 v[24:25], v[4:5], 2, s[4:5]
	.loc	1 15 20                         ; vecadd_pipelined.py:15:20
	global_load_dword v23, v[24:25], off
	s_or_b64 exec, exec, s[26:27]
	.loc	1 17 39 is_stmt 1               ; vecadd_pipelined.py:17:39
	s_and_saveexec_b64 s[26:27], s[16:17]
	s_cbranch_execz .LBB0_34
.LBB0_39:                               ;   in Loop: Header=BB0_19 Depth=1
	.loc	1 18 19                         ; vecadd_pipelined.py:18:19
	v_add_u32_e32 v24, 0xfffff900, v8
	v_ashrrev_i32_e32 v25, 31, v24
	v_lshl_add_u64 v[24:25], v[24:25], 2, s[6:7]
	s_waitcnt vmcnt(0)
	v_add_f32_e32 v6, v14, v17
	.loc	1 17 39                         ; vecadd_pipelined.py:17:39
	global_store_dword v[24:25], v6, off
	s_or_b64 exec, exec, s[26:27]
	s_and_saveexec_b64 s[16:17], s[14:15]
	s_cbranch_execz .LBB0_35
.LBB0_40:                               ;   in Loop: Header=BB0_19 Depth=1
	.loc	1 18 19                         ; vecadd_pipelined.py:18:19
	v_add_u32_e32 v24, 0xfffffa00, v8
	.loc	1 17 30                         ; vecadd_pipelined.py:17:30
	v_ashrrev_i32_e32 v25, 31, v24
	.loc	1 16 21                         ; vecadd_pipelined.py:16:21
	s_waitcnt vmcnt(0)
	v_add_f32_e32 v6, v11, v16
	.loc	1 17 30                         ; vecadd_pipelined.py:17:30
	v_lshl_add_u64 v[16:17], v[24:25], 2, s[6:7]
	.loc	1 17 39 is_stmt 0               ; vecadd_pipelined.py:17:39
	global_store_dword v[16:17], v6, off
	s_or_b64 exec, exec, s[16:17]
	s_and_saveexec_b64 s[14:15], s[12:13]
	s_cbranch_execz .LBB0_36
.LBB0_41:                               ;   in Loop: Header=BB0_19 Depth=1
	.loc	1 18 19 is_stmt 1               ; vecadd_pipelined.py:18:19
	s_waitcnt vmcnt(0)
	v_add_u32_e32 v14, 0xfffffb00, v8
	.loc	1 16 21                         ; vecadd_pipelined.py:16:21
	v_add_f32_e32 v6, v12, v15
	.loc	1 17 30                         ; vecadd_pipelined.py:17:30
	v_ashrrev_i32_e32 v15, 31, v14
	v_lshl_add_u64 v[14:15], v[14:15], 2, s[6:7]
	.loc	1 17 39 is_stmt 0               ; vecadd_pipelined.py:17:39
	global_store_dword v[14:15], v6, off
	s_or_b64 exec, exec, s[14:15]
	s_and_saveexec_b64 s[12:13], s[10:11]
	s_cbranch_execz .LBB0_18
.LBB0_42:                               ;   in Loop: Header=BB0_19 Depth=1
	.loc	1 18 19 is_stmt 1               ; vecadd_pipelined.py:18:19
	s_waitcnt vmcnt(0)
	v_add_u32_e32 v12, 0xfffffc00, v8
	.loc	1 16 21                         ; vecadd_pipelined.py:16:21
	v_add_f32_e32 v6, v10, v13
	.loc	1 17 30                         ; vecadd_pipelined.py:17:30
	v_ashrrev_i32_e32 v13, 31, v12
	v_lshl_add_u64 v[10:11], v[12:13], 2, s[6:7]
	.loc	1 17 39 is_stmt 0               ; vecadd_pipelined.py:17:39
	global_store_dword v[10:11], v6, off
	s_branch .LBB0_18
.LBB0_43:                               ; %Flow
	.loc	1 0 39                          ; vecadd_pipelined.py:0:39
	v_add_u32_e32 v6, 0xfffffd00, v4
	s_mov_b64 s[16:17], s[18:19]
	s_mov_b64 s[14:15], s[20:21]
	;; [unrolled: 1-line block ×4, first 2 shown]
	v_mov_b32_e32 v13, v23
	v_mov_b32_e32 v15, v7
	;; [unrolled: 1-line block ×8, first 2 shown]
.LBB0_44:                               ; %._crit_edge
	.loc	1 12 37 is_stmt 1               ; vecadd_pipelined.py:12:37
	s_and_b64 s[4:5], s[0:1], s[16:17]
	.loc	1 17 39                         ; vecadd_pipelined.py:17:39
	s_and_saveexec_b64 s[2:3], s[4:5]
	s_cbranch_execnz .LBB0_49
; %bb.45:
	.loc	1 0 39 is_stmt 0                ; vecadd_pipelined.py:0:39
	s_or_b64 exec, exec, s[2:3]
	.loc	1 12 37 is_stmt 1               ; vecadd_pipelined.py:12:37
	s_and_b64 s[4:5], s[0:1], s[14:15]
	.loc	1 17 39                         ; vecadd_pipelined.py:17:39
	s_and_saveexec_b64 s[2:3], s[4:5]
	s_cbranch_execnz .LBB0_50
.LBB0_46:
	.loc	1 0 39 is_stmt 0                ; vecadd_pipelined.py:0:39
	s_or_b64 exec, exec, s[2:3]
	.loc	1 12 37 is_stmt 1               ; vecadd_pipelined.py:12:37
	s_and_b64 s[4:5], s[0:1], s[12:13]
	.loc	1 17 39                         ; vecadd_pipelined.py:17:39
	s_and_saveexec_b64 s[2:3], s[4:5]
	s_cbranch_execnz .LBB0_51
.LBB0_47:
	.loc	1 0 39 is_stmt 0                ; vecadd_pipelined.py:0:39
	s_or_b64 exec, exec, s[2:3]
	.loc	1 12 37 is_stmt 1               ; vecadd_pipelined.py:12:37
	s_and_b64 s[0:1], s[0:1], s[10:11]
	.loc	1 17 39                         ; vecadd_pipelined.py:17:39
	s_and_saveexec_b64 s[2:3], s[0:1]
	s_cbranch_execnz .LBB0_52
.LBB0_48:
	.loc	1 12 4                          ; vecadd_pipelined.py:12:4
	s_endpgm
.LBB0_49:
	.loc	1 0 4 is_stmt 0                 ; vecadd_pipelined.py:0:4
	v_ashrrev_i32_e32 v7, 31, v6
	v_lshl_add_u64 v[6:7], v[6:7], 2, s[6:7]
	s_waitcnt vmcnt(0)
	v_add_f32_e32 v8, v14, v17
	.loc	1 17 39 is_stmt 1               ; vecadd_pipelined.py:17:39
	global_store_dword v[6:7], v8, off
	s_or_b64 exec, exec, s[2:3]
	.loc	1 12 37                         ; vecadd_pipelined.py:12:37
	s_and_b64 s[4:5], s[0:1], s[14:15]
	.loc	1 17 39                         ; vecadd_pipelined.py:17:39
	s_and_saveexec_b64 s[2:3], s[4:5]
	s_cbranch_execz .LBB0_46
.LBB0_50:
	.loc	1 16 21                         ; vecadd_pipelined.py:16:21
	s_waitcnt vmcnt(0)
	v_add_f32_e32 v6, v11, v16
	.loc	1 17 30                         ; vecadd_pipelined.py:17:30
	v_lshl_add_u64 v[0:1], v[0:1], 2, s[6:7]
	.loc	1 17 39 is_stmt 0               ; vecadd_pipelined.py:17:39
	global_store_dword v[0:1], v6, off
	s_or_b64 exec, exec, s[2:3]
	.loc	1 12 37 is_stmt 1               ; vecadd_pipelined.py:12:37
	s_and_b64 s[4:5], s[0:1], s[12:13]
	.loc	1 17 39                         ; vecadd_pipelined.py:17:39
	s_and_saveexec_b64 s[2:3], s[4:5]
	s_cbranch_execz .LBB0_47
.LBB0_51:
	.loc	1 16 21                         ; vecadd_pipelined.py:16:21
	s_waitcnt vmcnt(0)
	v_add_f32_e32 v6, v12, v15
	.loc	1 17 30                         ; vecadd_pipelined.py:17:30
	v_lshl_add_u64 v[0:1], v[2:3], 2, s[6:7]
	.loc	1 17 39 is_stmt 0               ; vecadd_pipelined.py:17:39
	global_store_dword v[0:1], v6, off
	s_or_b64 exec, exec, s[2:3]
	.loc	1 12 37 is_stmt 1               ; vecadd_pipelined.py:12:37
	s_and_b64 s[0:1], s[0:1], s[10:11]
	.loc	1 17 39                         ; vecadd_pipelined.py:17:39
	s_and_saveexec_b64 s[2:3], s[0:1]
	s_cbranch_execz .LBB0_48
.LBB0_52:
	.loc	1 16 21                         ; vecadd_pipelined.py:16:21
	s_waitcnt vmcnt(0)
	v_add_f32_e32 v2, v10, v13
	.loc	1 17 30                         ; vecadd_pipelined.py:17:30
	v_lshl_add_u64 v[0:1], v[4:5], 2, s[6:7]
	.loc	1 17 39 is_stmt 0               ; vecadd_pipelined.py:17:39
	global_store_dword v[0:1], v2, off
	.loc	1 12 4 is_stmt 1                ; vecadd_pipelined.py:12:4
	s_endpgm
.Ltmp2:
	.section	.rodata,"a",@progbits
	.p2align	6, 0x0
	.amdhsa_kernel vecadd_kernel
		.amdhsa_group_segment_fixed_size 0
		.amdhsa_private_segment_fixed_size 0
		.amdhsa_kernarg_size 48
		.amdhsa_user_sgpr_count 14
		.amdhsa_user_sgpr_dispatch_ptr 0
		.amdhsa_user_sgpr_queue_ptr 0
		.amdhsa_user_sgpr_kernarg_segment_ptr 1
		.amdhsa_user_sgpr_dispatch_id 0
		.amdhsa_user_sgpr_kernarg_preload_length 12
		.amdhsa_user_sgpr_kernarg_preload_offset 0
		.amdhsa_user_sgpr_private_segment_size 0
		.amdhsa_uses_dynamic_stack 0
		.amdhsa_enable_private_segment 0
		.amdhsa_system_sgpr_workgroup_id_x 1
		.amdhsa_system_sgpr_workgroup_id_y 0
		.amdhsa_system_sgpr_workgroup_id_z 0
		.amdhsa_system_sgpr_workgroup_info 0
		.amdhsa_system_vgpr_workitem_id 0
		.amdhsa_next_free_vgpr 26
		.amdhsa_next_free_sgpr 30
		.amdhsa_accum_offset 28
		.amdhsa_reserve_vcc 0
		.amdhsa_reserve_xnack_mask 1
		.amdhsa_float_round_mode_32 0
		.amdhsa_float_round_mode_16_64 0
		.amdhsa_float_denorm_mode_32 3
		.amdhsa_float_denorm_mode_16_64 3
		.amdhsa_dx10_clamp 1
		.amdhsa_ieee_mode 1
		.amdhsa_fp16_overflow 0
		.amdhsa_tg_split 0
		.amdhsa_exception_fp_ieee_invalid_op 0
		.amdhsa_exception_fp_denorm_src 0
		.amdhsa_exception_fp_ieee_div_zero 0
		.amdhsa_exception_fp_ieee_overflow 0
		.amdhsa_exception_fp_ieee_underflow 0
		.amdhsa_exception_fp_ieee_inexact 0
		.amdhsa_exception_int_div_zero 0
	.end_amdhsa_kernel
	.text
.Lfunc_end0:
	.size	vecadd_kernel, .Lfunc_end0-vecadd_kernel
	.cfi_endproc
                                        ; -- End function
	.set vecadd_kernel.num_vgpr, 26
	.set vecadd_kernel.num_agpr, 0
	.set vecadd_kernel.numbered_sgpr, 30
	.set vecadd_kernel.num_named_barrier, 0
	.set vecadd_kernel.private_seg_size, 0
	.set vecadd_kernel.uses_vcc, 0
	.set vecadd_kernel.uses_flat_scratch, 0
	.set vecadd_kernel.has_dyn_sized_stack, 0
	.set vecadd_kernel.has_recursion, 0
	.set vecadd_kernel.has_indirect_call, 0
	.section	.AMDGPU.csdata,"",@progbits
; Kernel info:
; codeLenInByte = 1560
; TotalNumSgprs: 36
; NumVgprs: 26
; NumAgprs: 0
; TotalNumVgprs: 26
; ScratchSize: 0
; MemoryBound: 0
; FloatMode: 240
; IeeeMode: 1
; LDSByteSize: 0 bytes/workgroup (compile time only)
; SGPRBlocks: 4
; VGPRBlocks: 3
; NumSGPRsForWavesPerEU: 36
; NumVGPRsForWavesPerEU: 26
; AccumOffset: 28
; Occupancy: 8
; WaveLimiterHint : 0
; COMPUTE_PGM_RSRC2:SCRATCH_EN: 0
; COMPUTE_PGM_RSRC2:USER_SGPR: 14
; COMPUTE_PGM_RSRC2:TRAP_HANDLER: 0
; COMPUTE_PGM_RSRC2:TGID_X_EN: 1
; COMPUTE_PGM_RSRC2:TGID_Y_EN: 0
; COMPUTE_PGM_RSRC2:TGID_Z_EN: 0
; COMPUTE_PGM_RSRC2:TIDIG_COMP_CNT: 0
; COMPUTE_PGM_RSRC3_GFX90A:ACCUM_OFFSET: 6
; COMPUTE_PGM_RSRC3_GFX90A:TG_SPLIT: 0
	.text
	.p2alignl 6, 3212836864
	.fill 256, 4, 3212836864
	.section	.AMDGPU.gpr_maximums,"",@progbits
	.set amdgpu.max_num_vgpr, 0
	.set amdgpu.max_num_agpr, 0
	.set amdgpu.max_num_sgpr, 0
	.set amdgpu.max_num_named_barrier, 0
	.text
	.section	.debug_abbrev,"",@progbits
	.byte	1                               ; Abbreviation Code
	.byte	17                              ; DW_TAG_compile_unit
	.byte	0                               ; DW_CHILDREN_no
	.byte	37                              ; DW_AT_producer
	.byte	14                              ; DW_FORM_strp
	.byte	19                              ; DW_AT_language
	.byte	5                               ; DW_FORM_data2
	.byte	3                               ; DW_AT_name
	.byte	14                              ; DW_FORM_strp
	.byte	16                              ; DW_AT_stmt_list
	.byte	23                              ; DW_FORM_sec_offset
	.byte	27                              ; DW_AT_comp_dir
	.byte	14                              ; DW_FORM_strp
	.byte	17                              ; DW_AT_low_pc
	.byte	1                               ; DW_FORM_addr
	.byte	18                              ; DW_AT_high_pc
	.byte	6                               ; DW_FORM_data4
	.byte	0                               ; EOM(1)
	.byte	0                               ; EOM(2)
	;; [unrolled: 1-line block ×3, first 2 shown]
	.section	.debug_info,"",@progbits
.Lcu_begin0:
	.long	.Ldebug_info_end0-.Ldebug_info_start0 ; Length of Unit
.Ldebug_info_start0:
	.short	4                               ; DWARF version number
	.long	.debug_abbrev                   ; Offset Into Abbrev. Section
	.byte	8                               ; Address Size (in bytes)
	.byte	1                               ; Abbrev [1] 0xb:0x1f DW_TAG_compile_unit
	.long	.Linfo_string0                  ; DW_AT_producer
	.short	2                               ; DW_AT_language
	.long	.Linfo_string1                  ; DW_AT_name
	.long	.Lline_table_start0             ; DW_AT_stmt_list
	.long	.Linfo_string2                  ; DW_AT_comp_dir
	.quad	.Lfunc_begin0                   ; DW_AT_low_pc
	.long	.Lfunc_end0-.Lfunc_begin0       ; DW_AT_high_pc
.Ldebug_info_end0:
	.section	.debug_str,"MS",@progbits,1
.Linfo_string0:
	.asciz	"triton"                        ; string offset=0
.Linfo_string1:
	.asciz	"vecadd_pipelined.py"           ; string offset=7
.Linfo_string2:
	.asciz	"/root/src/amdgpu-assembly/repos/triton-lang__triton-aot" ; string offset=27
	.section	".note.GNU-stack","",@progbits
	.amdgpu_metadata
---
amdhsa.kernels:
  - .agpr_count:     0
    .args:
      - .address_space:  global
        .offset:         0
        .size:           8
        .value_kind:     global_buffer
      - .address_space:  global
        .offset:         8
        .size:           8
        .value_kind:     global_buffer
      - .address_space:  global
        .offset:         16
        .size:           8
        .value_kind:     global_buffer
      - .offset:         24
        .size:           4
        .value_kind:     by_value
      - .offset:         28
        .size:           4
        .value_kind:     by_value
      - .address_space:  global
        .offset:         32
        .size:           8
        .value_kind:     global_buffer
      - .address_space:  global
        .offset:         40
        .size:           8
        .value_kind:     global_buffer
    .group_segment_fixed_size: 0
    .kernarg_segment_align: 8
    .kernarg_segment_size: 48
    .max_flat_workgroup_size: 256
    .name:           vecadd_kernel
    .private_segment_fixed_size: 0
    .sgpr_count:     36
    .sgpr_spill_count: 0
    .symbol:         vecadd_kernel.kd
    .uniform_work_group_size: 1
    .uses_dynamic_stack: false
    .vgpr_count:     26
    .vgpr_spill_count: 0
    .wavefront_size: 64
amdhsa.target:   amdgcn-amd-amdhsa--gfx950
amdhsa.version:
  - 1
  - 2
...

	.end_amdgpu_metadata
	.section	.debug_line,"",@progbits
.Lline_table_start0:
